;; amdgpu-corpus repo=ROCm/rocm-examples kind=compiled arch=gfx1250 opt=O3
	.amdgcn_target "amdgcn-amd-amdhsa--gfx1250"
	.amdhsa_code_object_version 6
	.section	.text._Z28matrix_multiplication_kernelILj16EEvPKfS1_Pfj,"axG",@progbits,_Z28matrix_multiplication_kernelILj16EEvPKfS1_Pfj,comdat
	.protected	_Z28matrix_multiplication_kernelILj16EEvPKfS1_Pfj ; -- Begin function _Z28matrix_multiplication_kernelILj16EEvPKfS1_Pfj
	.globl	_Z28matrix_multiplication_kernelILj16EEvPKfS1_Pfj
	.p2align	8
	.type	_Z28matrix_multiplication_kernelILj16EEvPKfS1_Pfj,@function
_Z28matrix_multiplication_kernelILj16EEvPKfS1_Pfj: ; @_Z28matrix_multiplication_kernelILj16EEvPKfS1_Pfj
; %bb.0:
	s_clause 0x3
	s_load_b32 s3, s[0:1], 0x2c
	s_load_b128 s[4:7], s[0:1], 0x0
	s_load_b96 s[8:10], s[0:1], 0x10
	s_load_b32 s11, s[0:1], 0x20
	s_wait_xcnt 0x0
	s_bfe_u32 s0, ttmp6, 0x4000c
	s_bfe_u32 s2, ttmp6, 0x40010
	s_add_co_i32 s0, s0, 1
	s_and_b32 s1, ttmp6, 15
	s_mul_i32 s0, ttmp9, s0
	s_add_co_i32 s2, s2, 1
	s_add_co_i32 s1, s1, s0
	s_mul_i32 s0, ttmp7, s2
	s_bfe_u32 s2, ttmp6, 0x40004
	s_getreg_b32 s12, hwreg(HW_REG_IB_STS2, 6, 4)
	v_bfe_u32 v3, v0, 10, 10
	s_add_co_i32 s2, s2, s0
	s_cmp_eq_u32 s12, 0
	v_and_b32_e32 v0, 0x3ff, v0
	s_cselect_b32 s2, ttmp7, s2
	s_cselect_b32 s1, ttmp9, s1
	v_lshl_add_u32 v1, s2, 4, v3
	s_wait_kmcnt 0x0
	s_and_b32 s0, s3, 0xffff
	s_cmp_gt_u32 s10, 15
	s_mul_i32 s0, s11, s0
	s_cbranch_scc0 .LBB0_4
; %bb.1:
	v_mul_lo_u32 v8, s0, v3
	v_lshl_add_u32 v2, s2, 4, v3
	v_dual_lshlrev_b32 v6, 2, v0 :: v_dual_lshlrev_b32 v3, 6, v3
	s_lshl_b32 s2, s1, 4
	v_mov_b32_e32 v9, 0
	s_delay_alu instid0(VALU_DEP_3) | instskip(NEXT) | instid1(VALU_DEP_3)
	v_mad_u32 v5, s10, v2, v0
	v_add_nc_u32_e32 v4, 0x400, v6
	v_add_nc_u32_e32 v6, v3, v6
	s_lshr_b32 s3, s10, 4
	s_lshl_b32 s10, s0, 4
	v_add3_u32 v8, v0, v8, s2
	v_add_nc_u32_e32 v7, v4, v3
.LBB0_2:                                ; =>This Inner Loop Header: Depth=1
	global_load_b32 v10, v5, s[4:5] scale_offset
	global_load_b32 v11, v8, s[6:7] scale_offset
	s_add_co_i32 s3, s3, -1
	s_wait_loadcnt 0x1
	ds_store_b32 v6, v10
	s_wait_loadcnt 0x0
	ds_store_b32 v7, v11
	s_wait_dscnt 0x0
	s_barrier_signal -1
	s_barrier_wait -1
	ds_load_b128 v[10:13], v3
	ds_load_2addr_b32 v[18:19], v4 offset1:16
	ds_load_2addr_b32 v[22:23], v4 offset0:32 offset1:48
	ds_load_b128 v[14:17], v3 offset:16
	ds_load_2addr_b32 v[24:25], v4 offset0:64 offset1:80
	ds_load_2addr_b32 v[26:27], v4 offset0:96 offset1:112
	s_cmp_eq_u32 s3, 0
	v_dual_add_nc_u32 v8, s10, v8 :: v_dual_add_nc_u32 v5, 16, v5
	s_wait_dscnt 0x4
	v_fmac_f32_e32 v9, v10, v18
	s_wait_dscnt 0x0
	v_pk_mul_f32 v[16:17], v[16:17], v[26:27]
	s_delay_alu instid0(VALU_DEP_2)
	v_fmac_f32_e32 v9, v11, v19
	ds_load_b128 v[18:21], v3 offset:32
	ds_load_2addr_b32 v[28:29], v4 offset0:128 offset1:144
	v_pk_mul_f32 v[10:11], v[14:15], v[24:25]
	ds_load_2addr_b32 v[14:15], v4 offset0:160 offset1:176
	v_fmac_f32_e32 v9, v12, v22
	s_delay_alu instid0(VALU_DEP_1) | instskip(NEXT) | instid1(VALU_DEP_1)
	v_fmac_f32_e32 v9, v13, v23
	v_add_f32_e32 v9, v9, v10
	s_delay_alu instid0(VALU_DEP_1)
	v_add_f32_e32 v9, v9, v11
	ds_load_b128 v[10:13], v3 offset:48
	ds_load_2addr_b32 v[22:23], v4 offset0:192 offset1:208
	s_wait_dscnt 0x3
	v_pk_mul_f32 v[18:19], v[18:19], v[28:29]
	s_wait_dscnt 0x2
	v_pk_mul_f32 v[14:15], v[20:21], v[14:15]
	v_add_f32_e32 v9, v9, v16
	s_delay_alu instid0(VALU_DEP_1)
	v_add_f32_e32 v9, v9, v17
	ds_load_2addr_b32 v[16:17], v4 offset0:224 offset1:240
	s_wait_dscnt 0x0
	s_barrier_signal -1
	s_barrier_wait -1
	v_add_f32_e32 v9, v9, v18
	s_delay_alu instid0(VALU_DEP_1) | instskip(SKIP_1) | instid1(VALU_DEP_2)
	v_add_f32_e32 v9, v9, v19
	v_pk_mul_f32 v[10:11], v[10:11], v[22:23]
	v_add_f32_e32 v9, v9, v14
	s_delay_alu instid0(VALU_DEP_1) | instskip(SKIP_1) | instid1(VALU_DEP_2)
	v_add_f32_e32 v9, v9, v15
	v_pk_mul_f32 v[12:13], v[12:13], v[16:17]
	v_add_f32_e32 v9, v9, v10
	s_delay_alu instid0(VALU_DEP_1) | instskip(NEXT) | instid1(VALU_DEP_1)
	v_add_f32_e32 v9, v9, v11
	v_add_f32_e32 v9, v9, v12
	s_delay_alu instid0(VALU_DEP_1)
	v_add_f32_e32 v9, v9, v13
	s_cbranch_scc0 .LBB0_2
; %bb.3:
	s_branch .LBB0_6
.LBB0_4:
                                        ; implicit-def: $vgpr9
                                        ; implicit-def: $sgpr2
                                        ; implicit-def: $vgpr2
	s_cbranch_execz .LBB0_6
; %bb.5:
	v_dual_mov_b32 v9, 0 :: v_dual_mov_b32 v2, v1
	s_lshl_b32 s2, s1, 4
.LBB0_6:
	s_delay_alu instid0(SALU_CYCLE_1) | instskip(NEXT) | instid1(VALU_DEP_1)
	v_add_nc_u32_e32 v0, s2, v0
	v_mad_u32 v0, v2, s0, v0
	global_store_b32 v0, v9, s[8:9] scale_offset
	s_endpgm
	.section	.rodata,"a",@progbits
	.p2align	6, 0x0
	.amdhsa_kernel _Z28matrix_multiplication_kernelILj16EEvPKfS1_Pfj
		.amdhsa_group_segment_fixed_size 2048
		.amdhsa_private_segment_fixed_size 0
		.amdhsa_kernarg_size 288
		.amdhsa_user_sgpr_count 2
		.amdhsa_user_sgpr_dispatch_ptr 0
		.amdhsa_user_sgpr_queue_ptr 0
		.amdhsa_user_sgpr_kernarg_segment_ptr 1
		.amdhsa_user_sgpr_dispatch_id 0
		.amdhsa_user_sgpr_kernarg_preload_length 0
		.amdhsa_user_sgpr_kernarg_preload_offset 0
		.amdhsa_user_sgpr_private_segment_size 0
		.amdhsa_wavefront_size32 1
		.amdhsa_uses_dynamic_stack 0
		.amdhsa_enable_private_segment 0
		.amdhsa_system_sgpr_workgroup_id_x 1
		.amdhsa_system_sgpr_workgroup_id_y 1
		.amdhsa_system_sgpr_workgroup_id_z 0
		.amdhsa_system_sgpr_workgroup_info 0
		.amdhsa_system_vgpr_workitem_id 1
		.amdhsa_next_free_vgpr 30
		.amdhsa_next_free_sgpr 13
		.amdhsa_named_barrier_count 0
		.amdhsa_reserve_vcc 0
		.amdhsa_float_round_mode_32 0
		.amdhsa_float_round_mode_16_64 0
		.amdhsa_float_denorm_mode_32 3
		.amdhsa_float_denorm_mode_16_64 3
		.amdhsa_fp16_overflow 0
		.amdhsa_memory_ordered 1
		.amdhsa_forward_progress 1
		.amdhsa_inst_pref_size 5
		.amdhsa_round_robin_scheduling 0
		.amdhsa_exception_fp_ieee_invalid_op 0
		.amdhsa_exception_fp_denorm_src 0
		.amdhsa_exception_fp_ieee_div_zero 0
		.amdhsa_exception_fp_ieee_overflow 0
		.amdhsa_exception_fp_ieee_underflow 0
		.amdhsa_exception_fp_ieee_inexact 0
		.amdhsa_exception_int_div_zero 0
	.end_amdhsa_kernel
	.section	.text._Z28matrix_multiplication_kernelILj16EEvPKfS1_Pfj,"axG",@progbits,_Z28matrix_multiplication_kernelILj16EEvPKfS1_Pfj,comdat
.Lfunc_end0:
	.size	_Z28matrix_multiplication_kernelILj16EEvPKfS1_Pfj, .Lfunc_end0-_Z28matrix_multiplication_kernelILj16EEvPKfS1_Pfj
                                        ; -- End function
	.set _Z28matrix_multiplication_kernelILj16EEvPKfS1_Pfj.num_vgpr, 30
	.set _Z28matrix_multiplication_kernelILj16EEvPKfS1_Pfj.num_agpr, 0
	.set _Z28matrix_multiplication_kernelILj16EEvPKfS1_Pfj.numbered_sgpr, 13
	.set _Z28matrix_multiplication_kernelILj16EEvPKfS1_Pfj.num_named_barrier, 0
	.set _Z28matrix_multiplication_kernelILj16EEvPKfS1_Pfj.private_seg_size, 0
	.set _Z28matrix_multiplication_kernelILj16EEvPKfS1_Pfj.uses_vcc, 0
	.set _Z28matrix_multiplication_kernelILj16EEvPKfS1_Pfj.uses_flat_scratch, 0
	.set _Z28matrix_multiplication_kernelILj16EEvPKfS1_Pfj.has_dyn_sized_stack, 0
	.set _Z28matrix_multiplication_kernelILj16EEvPKfS1_Pfj.has_recursion, 0
	.set _Z28matrix_multiplication_kernelILj16EEvPKfS1_Pfj.has_indirect_call, 0
	.section	.AMDGPU.csdata,"",@progbits
; Kernel info:
; codeLenInByte = 640
; TotalNumSgprs: 13
; NumVgprs: 30
; ScratchSize: 0
; MemoryBound: 0
; FloatMode: 240
; IeeeMode: 1
; LDSByteSize: 2048 bytes/workgroup (compile time only)
; SGPRBlocks: 0
; VGPRBlocks: 1
; NumSGPRsForWavesPerEU: 13
; NumVGPRsForWavesPerEU: 30
; NamedBarCnt: 0
; Occupancy: 16
; WaveLimiterHint : 0
; COMPUTE_PGM_RSRC2:SCRATCH_EN: 0
; COMPUTE_PGM_RSRC2:USER_SGPR: 2
; COMPUTE_PGM_RSRC2:TRAP_HANDLER: 0
; COMPUTE_PGM_RSRC2:TGID_X_EN: 1
; COMPUTE_PGM_RSRC2:TGID_Y_EN: 1
; COMPUTE_PGM_RSRC2:TGID_Z_EN: 0
; COMPUTE_PGM_RSRC2:TIDIG_COMP_CNT: 1
	.section	.AMDGPU.gpr_maximums,"",@progbits
	.set amdgpu.max_num_vgpr, 0
	.set amdgpu.max_num_agpr, 0
	.set amdgpu.max_num_sgpr, 0
	.section	.AMDGPU.csdata,"",@progbits
	.type	__hip_cuid_4852780a6658ef4e,@object ; @__hip_cuid_4852780a6658ef4e
	.section	.bss,"aw",@nobits
	.globl	__hip_cuid_4852780a6658ef4e
__hip_cuid_4852780a6658ef4e:
	.byte	0                               ; 0x0
	.size	__hip_cuid_4852780a6658ef4e, 1

	.ident	"AMD clang version 22.0.0git (https://github.com/RadeonOpenCompute/llvm-project roc-7.2.4 26084 f58b06dce1f9c15707c5f808fd002e18c2accf7e)"
	.section	".note.GNU-stack","",@progbits
	.addrsig
	.addrsig_sym __hip_cuid_4852780a6658ef4e
	.amdgpu_metadata
---
amdhsa.kernels:
  - .args:
      - .address_space:  global
        .offset:         0
        .size:           8
        .value_kind:     global_buffer
      - .address_space:  global
        .offset:         8
        .size:           8
        .value_kind:     global_buffer
      - .address_space:  global
        .offset:         16
        .size:           8
        .value_kind:     global_buffer
      - .offset:         24
        .size:           4
        .value_kind:     by_value
      - .offset:         32
        .size:           4
        .value_kind:     hidden_block_count_x
      - .offset:         36
        .size:           4
        .value_kind:     hidden_block_count_y
      - .offset:         40
        .size:           4
        .value_kind:     hidden_block_count_z
      - .offset:         44
        .size:           2
        .value_kind:     hidden_group_size_x
      - .offset:         46
        .size:           2
        .value_kind:     hidden_group_size_y
      - .offset:         48
        .size:           2
        .value_kind:     hidden_group_size_z
      - .offset:         50
        .size:           2
        .value_kind:     hidden_remainder_x
      - .offset:         52
        .size:           2
        .value_kind:     hidden_remainder_y
      - .offset:         54
        .size:           2
        .value_kind:     hidden_remainder_z
      - .offset:         72
        .size:           8
        .value_kind:     hidden_global_offset_x
      - .offset:         80
        .size:           8
        .value_kind:     hidden_global_offset_y
      - .offset:         88
        .size:           8
        .value_kind:     hidden_global_offset_z
      - .offset:         96
        .size:           2
        .value_kind:     hidden_grid_dims
    .group_segment_fixed_size: 2048
    .kernarg_segment_align: 8
    .kernarg_segment_size: 288
    .language:       OpenCL C
    .language_version:
      - 2
      - 0
    .max_flat_workgroup_size: 1024
    .name:           _Z28matrix_multiplication_kernelILj16EEvPKfS1_Pfj
    .private_segment_fixed_size: 0
    .sgpr_count:     13
    .sgpr_spill_count: 0
    .symbol:         _Z28matrix_multiplication_kernelILj16EEvPKfS1_Pfj.kd
    .uniform_work_group_size: 1
    .uses_dynamic_stack: false
    .vgpr_count:     30
    .vgpr_spill_count: 0
    .wavefront_size: 32
amdhsa.target:   amdgcn-amd-amdhsa--gfx1250
amdhsa.version:
  - 1
  - 2
...

	.end_amdgpu_metadata
